;; amdgpu-corpus repo=ROCm/rocFFT kind=compiled arch=gfx1030 opt=O3
	.text
	.amdgcn_target "amdgcn-amd-amdhsa--gfx1030"
	.amdhsa_code_object_version 6
	.protected	bluestein_single_fwd_len132_dim1_sp_op_CI_CI ; -- Begin function bluestein_single_fwd_len132_dim1_sp_op_CI_CI
	.globl	bluestein_single_fwd_len132_dim1_sp_op_CI_CI
	.p2align	8
	.type	bluestein_single_fwd_len132_dim1_sp_op_CI_CI,@function
bluestein_single_fwd_len132_dim1_sp_op_CI_CI: ; @bluestein_single_fwd_len132_dim1_sp_op_CI_CI
; %bb.0:
	s_load_dwordx4 s[0:3], s[4:5], 0x28
	v_mul_u32_u24_e32 v1, 0xba3, v0
	v_lshrrev_b32_e32 v1, 16, v1
	v_mad_u64_u32 v[28:29], null, s6, 5, v[1:2]
	v_mov_b32_e32 v29, 0
	s_waitcnt lgkmcnt(0)
	v_cmp_gt_u64_e32 vcc_lo, s[0:1], v[28:29]
	s_and_saveexec_b32 s0, vcc_lo
	s_cbranch_execz .LBB0_15
; %bb.1:
	v_mul_hi_u32 v2, 0xcccccccd, v28
	v_mul_lo_u16 v1, v1, 22
	s_clause 0x1
	s_load_dwordx2 s[14:15], s[4:5], 0x0
	s_load_dwordx2 s[12:13], s[4:5], 0x38
	v_sub_nc_u16 v0, v0, v1
	v_lshrrev_b32_e32 v2, 2, v2
	v_and_b32_e32 v43, 0xffff, v0
	v_cmp_gt_u16_e32 vcc_lo, 12, v0
	v_lshl_add_u32 v2, v2, 2, v2
	v_lshlrev_b32_e32 v42, 3, v43
	v_or_b32_e32 v40, 48, v43
	v_sub_nc_u32_e32 v1, v28, v2
	v_or_b32_e32 v39, 0x60, v43
	v_mul_u32_u24_e32 v41, 0x84, v1
	v_lshlrev_b32_e32 v44, 3, v41
	s_and_saveexec_b32 s1, vcc_lo
	s_cbranch_execz .LBB0_3
; %bb.2:
	s_load_dwordx2 s[6:7], s[4:5], 0x18
	v_add_nc_u32_e32 v27, v44, v42
	s_waitcnt lgkmcnt(0)
	s_load_dwordx4 s[8:11], s[6:7], 0x0
	s_clause 0x2
	global_load_dwordx2 v[4:5], v42, s[14:15]
	global_load_dwordx2 v[6:7], v42, s[14:15] offset:96
	global_load_dwordx2 v[8:9], v42, s[14:15] offset:384
	s_waitcnt lgkmcnt(0)
	v_mad_u64_u32 v[0:1], null, s10, v28, 0
	v_mad_u64_u32 v[2:3], null, s8, v43, 0
	;; [unrolled: 1-line block ×3, first 2 shown]
	s_mul_i32 s0, s9, 0x60
	s_mul_hi_u32 s6, s8, 0x60
	s_mul_i32 s7, s8, 0x60
	s_add_i32 s6, s6, s0
	v_mad_u64_u32 v[12:13], null, s11, v28, v[1:2]
	v_mad_u64_u32 v[13:14], null, s8, v39, 0
	v_mov_b32_e32 v1, v12
	v_mov_b32_e32 v12, v14
	v_lshlrev_b64 v[0:1], 3, v[0:1]
	v_add_co_u32 v21, s0, s2, v0
	v_add_co_ci_u32_e64 v22, s0, s3, v1, s0
	s_mul_i32 s2, s9, 0xc0
	s_waitcnt vmcnt(2)
	v_mad_u64_u32 v[15:16], null, s9, v43, v[3:4]
	v_mov_b32_e32 v3, v15
	v_mad_u64_u32 v[14:15], null, s9, v40, v[11:12]
	v_mad_u64_u32 v[15:16], null, s9, v39, v[12:13]
	v_lshlrev_b64 v[2:3], 3, v[2:3]
	v_mov_b32_e32 v11, v14
	v_add_co_u32 v0, s0, v21, v2
	v_add_co_ci_u32_e64 v1, s0, v22, v3, s0
	v_mov_b32_e32 v14, v15
	v_add_co_u32 v2, s0, v0, s7
	v_add_co_ci_u32_e64 v3, s0, s6, v1, s0
	v_lshlrev_b64 v[10:11], 3, v[10:11]
	v_add_co_u32 v15, s0, v2, s7
	v_add_co_ci_u32_e64 v16, s0, s6, v3, s0
	v_lshlrev_b64 v[12:13], 3, v[13:14]
	v_add_co_u32 v17, s0, v15, s7
	v_add_co_ci_u32_e64 v18, s0, s6, v16, s0
	v_add_co_u32 v10, s0, v21, v10
	v_add_co_ci_u32_e64 v11, s0, v22, v11, s0
	v_mad_u64_u32 v[19:20], null, 0xc0, s8, v[17:18]
	v_add_co_u32 v12, s0, v21, v12
	v_add_co_ci_u32_e64 v13, s0, v22, v13, s0
	global_load_dwordx2 v[0:1], v[0:1], off
	global_load_dwordx2 v[21:22], v42, s[14:15] offset:768
	s_clause 0x1
	global_load_dwordx2 v[10:11], v[10:11], off
	global_load_dwordx2 v[14:15], v[15:16], off
	v_add_nc_u32_e32 v20, s2, v20
	v_add_co_u32 v23, s0, v19, s7
	s_clause 0x1
	global_load_dwordx2 v[12:13], v[12:13], off
	global_load_dwordx2 v[2:3], v[2:3], off
	v_add_co_ci_u32_e64 v24, s0, s6, v20, s0
	v_add_co_u32 v25, s0, v23, s7
	s_clause 0x1
	global_load_dwordx2 v[29:30], v42, s[14:15] offset:192
	global_load_dwordx2 v[31:32], v42, s[14:15] offset:288
	global_load_dwordx2 v[16:17], v[17:18], off
	v_add_co_ci_u32_e64 v26, s0, s6, v24, s0
	global_load_dwordx2 v[18:19], v[19:20], off
	s_clause 0x2
	global_load_dwordx2 v[35:36], v42, s[14:15] offset:480
	global_load_dwordx2 v[37:38], v42, s[14:15] offset:576
	;; [unrolled: 1-line block ×3, first 2 shown]
	global_load_dwordx2 v[23:24], v[23:24], off
	v_lshl_add_u32 v20, v43, 3, v44
	v_mad_u64_u32 v[33:34], null, 0xc0, s8, v[25:26]
	global_load_dwordx2 v[25:26], v[25:26], off
	v_add_nc_u32_e32 v34, s2, v34
	v_add_co_u32 v47, s0, v33, s7
	v_add_co_ci_u32_e64 v48, s0, s6, v34, s0
	global_load_dwordx2 v[33:34], v[33:34], off
	s_clause 0x1
	global_load_dwordx2 v[49:50], v42, s[14:15] offset:864
	global_load_dwordx2 v[51:52], v42, s[14:15] offset:960
	global_load_dwordx2 v[47:48], v[47:48], off
	s_waitcnt vmcnt(18)
	v_mul_f32_e32 v54, v0, v5
	v_mul_f32_e32 v53, v1, v5
	s_waitcnt vmcnt(16)
	v_mul_f32_e32 v5, v10, v9
	v_mul_f32_e32 v55, v11, v9
	v_fma_f32 v54, v1, v4, -v54
	v_fmac_f32_e32 v53, v0, v4
	v_fma_f32 v56, v11, v8, -v5
	s_waitcnt vmcnt(13)
	v_mul_f32_e32 v0, v3, v7
	v_mul_f32_e32 v1, v2, v7
	;; [unrolled: 1-line block ×3, first 2 shown]
	s_waitcnt vmcnt(12)
	v_mul_f32_e32 v5, v14, v30
	v_mul_f32_e32 v22, v12, v22
	s_waitcnt vmcnt(10)
	v_mul_f32_e32 v7, v16, v32
	v_fmac_f32_e32 v55, v10, v8
	v_fmac_f32_e32 v0, v2, v6
	s_waitcnt vmcnt(5)
	v_mul_f32_e32 v8, v23, v38
	v_mul_f32_e32 v4, v17, v32
	v_fma_f32 v1, v3, v6, -v1
	v_mul_f32_e32 v6, v19, v36
	v_mul_f32_e32 v2, v15, v30
	v_fma_f32 v3, v15, v29, -v5
	v_fma_f32 v5, v17, v31, -v7
	v_mul_f32_e32 v7, v18, v36
	v_mul_f32_e32 v11, v24, v38
	v_fmac_f32_e32 v9, v12, v21
	v_fma_f32 v10, v13, v21, -v22
	s_waitcnt vmcnt(4)
	v_mul_f32_e32 v13, v26, v46
	v_fma_f32 v12, v24, v37, -v8
	v_mul_f32_e32 v8, v25, v46
	v_fmac_f32_e32 v4, v16, v31
	v_fmac_f32_e32 v6, v18, v35
	s_waitcnt vmcnt(2)
	v_mul_f32_e32 v15, v34, v50
	v_mul_f32_e32 v16, v33, v50
	s_waitcnt vmcnt(0)
	v_mul_f32_e32 v17, v48, v52
	v_mul_f32_e32 v18, v47, v52
	v_fmac_f32_e32 v2, v14, v29
	v_fma_f32 v7, v19, v35, -v7
	v_fmac_f32_e32 v11, v23, v37
	v_fmac_f32_e32 v13, v25, v45
	v_fma_f32 v14, v26, v45, -v8
	v_fmac_f32_e32 v15, v33, v49
	v_fma_f32 v16, v34, v49, -v16
	;; [unrolled: 2-line block ×3, first 2 shown]
	ds_write_b64 v20, v[53:54]
	ds_write2_b64 v27, v[0:1], v[2:3] offset0:12 offset1:24
	ds_write2_b64 v27, v[4:5], v[55:56] offset0:36 offset1:48
	;; [unrolled: 1-line block ×5, first 2 shown]
.LBB0_3:
	s_or_b32 exec_lo, exec_lo, s1
	s_clause 0x1
	s_load_dwordx2 s[6:7], s[4:5], 0x20
	s_load_dwordx2 s[2:3], s[4:5], 0x8
	v_mov_b32_e32 v8, 0
	v_mov_b32_e32 v9, 0
	s_waitcnt lgkmcnt(0)
	s_barrier
	buffer_gl0_inv
                                        ; implicit-def: $vgpr12
                                        ; implicit-def: $vgpr16
                                        ; implicit-def: $vgpr31
                                        ; implicit-def: $vgpr22
                                        ; implicit-def: $vgpr26
	s_and_saveexec_b32 s0, vcc_lo
	s_cbranch_execz .LBB0_5
; %bb.4:
	v_lshl_add_u32 v0, v41, 3, v42
	ds_read2_b64 v[8:11], v0 offset1:12
	ds_read2_b64 v[24:27], v0 offset0:24 offset1:36
	ds_read2_b64 v[20:23], v0 offset0:48 offset1:60
	;; [unrolled: 1-line block ×4, first 2 shown]
	ds_read_b64 v[31:32], v0 offset:960
.LBB0_5:
	s_or_b32 exec_lo, exec_lo, s0
	s_waitcnt lgkmcnt(0)
	v_sub_f32_e32 v4, v10, v31
	v_sub_f32_e32 v1, v11, v32
	v_add_f32_e32 v54, v32, v11
	v_sub_f32_e32 v6, v24, v18
	v_add_f32_e32 v53, v31, v10
	v_mul_f32_e32 v34, 0xbf0a6770, v4
	v_mul_f32_e32 v33, 0xbf0a6770, v1
	v_sub_f32_e32 v5, v25, v19
	v_add_f32_e32 v55, v19, v25
	v_mul_f32_e32 v36, 0xbf68dda4, v6
	v_fma_f32 v2, 0x3f575c64, v54, -v34
	v_sub_f32_e32 v45, v26, v16
	v_add_f32_e32 v52, v18, v24
	v_fmamk_f32 v0, v53, 0x3f575c64, v33
	v_mul_f32_e32 v35, 0xbf68dda4, v5
	v_add_f32_e32 v2, v2, v9
	v_sub_f32_e32 v7, v27, v17
	v_fma_f32 v29, 0x3ed4b147, v55, -v36
	v_add_f32_e32 v58, v17, v27
	v_mul_f32_e32 v38, 0xbf7d64f0, v45
	v_sub_f32_e32 v95, v20, v14
	v_add_f32_e32 v0, v0, v8
	v_fmamk_f32 v3, v52, 0x3ed4b147, v35
	v_add_f32_e32 v56, v16, v26
	v_mul_f32_e32 v37, 0xbf7d64f0, v7
	v_add_f32_e32 v2, v29, v2
	v_sub_f32_e32 v90, v21, v15
	v_fma_f32 v29, 0xbe11bafb, v58, -v38
	v_add_f32_e32 v62, v15, v21
	v_mul_f32_e32 v48, 0xbf4178ce, v95
	v_mul_f32_e32 v47, 0xbf68dda4, v1
	v_add_f32_e32 v0, v3, v0
	v_fmamk_f32 v3, v56, 0xbe11bafb, v37
	v_add_f32_e32 v60, v14, v20
	v_mul_f32_e32 v46, 0xbf4178ce, v90
	v_add_f32_e32 v2, v29, v2
	v_sub_f32_e32 v100, v23, v13
	v_fma_f32 v29, 0xbf27a4f4, v62, -v48
	v_mul_f32_e32 v63, 0xbf68dda4, v4
	v_add_f32_e32 v0, v3, v0
	v_fmamk_f32 v3, v60, 0xbf27a4f4, v46
	v_sub_f32_e32 v101, v22, v12
	v_add_f32_e32 v67, v12, v22
	v_mul_f32_e32 v49, 0xbe903f40, v100
	v_fmamk_f32 v30, v53, 0x3ed4b147, v47
	v_add_f32_e32 v2, v29, v2
	v_mul_f32_e32 v59, 0xbf4178ce, v5
	v_fma_f32 v29, 0x3ed4b147, v54, -v63
	v_mul_f32_e32 v65, 0xbf4178ce, v6
	v_add_f32_e32 v68, v13, v23
	v_mul_f32_e32 v50, 0xbe903f40, v101
	v_add_f32_e32 v0, v3, v0
	v_fmamk_f32 v3, v67, 0xbf75a155, v49
	v_add_f32_e32 v30, v30, v8
	v_fmamk_f32 v51, v52, 0xbf27a4f4, v59
	v_add_f32_e32 v66, v29, v9
	v_mul_f32_e32 v61, 0x3e903f40, v7
	v_fma_f32 v69, 0xbf27a4f4, v55, -v65
	v_mul_f32_e32 v64, 0x3e903f40, v45
	v_fma_f32 v57, 0xbf75a155, v68, -v50
	v_add_f32_e32 v29, v3, v0
	v_add_f32_e32 v0, v51, v30
	v_fmamk_f32 v3, v56, 0xbf75a155, v61
	v_add_f32_e32 v30, v69, v66
	v_fma_f32 v69, 0xbf75a155, v58, -v64
	v_mul_f32_e32 v66, 0x3f7d64f0, v95
	v_mul_f32_e32 v74, 0xbf7d64f0, v1
	v_add_f32_e32 v0, v3, v0
	v_mul_f32_e32 v70, 0x3e903f40, v5
	v_add_f32_e32 v3, v69, v30
	v_fma_f32 v71, 0xbe11bafb, v62, -v66
	v_add_f32_e32 v30, v57, v2
	v_fmamk_f32 v2, v53, 0xbe11bafb, v74
	v_mul_f32_e32 v51, 0x3f7d64f0, v90
	v_fmamk_f32 v72, v52, 0xbf75a155, v70
	v_add_f32_e32 v3, v71, v3
	v_mul_f32_e32 v71, 0x3f68dda4, v7
	v_add_f32_e32 v2, v2, v8
	v_mul_f32_e32 v77, 0xbf7d64f0, v4
	v_fmamk_f32 v69, v60, 0xbe11bafb, v51
	v_mul_f32_e32 v57, 0x3f0a6770, v100
	v_fmamk_f32 v73, v56, 0x3ed4b147, v71
	v_add_f32_e32 v2, v72, v2
	v_mul_f32_e32 v72, 0xbf0a6770, v90
	v_fma_f32 v75, 0xbe11bafb, v54, -v77
	v_mul_f32_e32 v76, 0x3e903f40, v6
	v_add_f32_e32 v0, v69, v0
	v_mul_f32_e32 v69, 0x3f0a6770, v101
	v_fmamk_f32 v78, v67, 0x3f575c64, v57
	v_add_f32_e32 v80, v73, v2
	v_fmamk_f32 v81, v60, 0x3f575c64, v72
	v_add_f32_e32 v82, v75, v9
	v_fma_f32 v83, 0xbf75a155, v55, -v76
	v_mul_f32_e32 v75, 0x3f68dda4, v45
	v_fma_f32 v79, 0x3f575c64, v68, -v69
	v_add_f32_e32 v2, v78, v0
	v_add_f32_e32 v0, v81, v80
	;; [unrolled: 1-line block ×3, first 2 shown]
	v_fma_f32 v81, 0x3ed4b147, v58, -v75
	v_mul_f32_e32 v83, 0xbf4178ce, v1
	v_mul_f32_e32 v89, 0xbf4178ce, v4
	v_add_f32_e32 v3, v79, v3
	v_mul_f32_e32 v84, 0x3f7d64f0, v5
	v_add_f32_e32 v82, v81, v80
	v_fmamk_f32 v79, v53, 0xbf27a4f4, v83
	v_fma_f32 v80, 0xbf27a4f4, v54, -v89
	v_mul_f32_e32 v88, 0x3f7d64f0, v6
	v_fmamk_f32 v85, v52, 0xbe11bafb, v84
	v_mul_f32_e32 v81, 0xbf0a6770, v7
	v_add_f32_e32 v79, v79, v8
	v_add_f32_e32 v80, v80, v9
	v_fma_f32 v87, 0xbe11bafb, v55, -v88
	v_mul_f32_e32 v86, 0xbf0a6770, v45
	v_fmamk_f32 v93, v56, 0x3f575c64, v81
	v_add_f32_e32 v92, v85, v79
	v_mul_f32_e32 v73, 0xbf4178ce, v100
	v_add_f32_e32 v87, v87, v80
	v_mul_f32_e32 v80, 0xbe903f40, v90
	v_fma_f32 v94, 0x3f575c64, v58, -v86
	v_mul_f32_e32 v85, 0xbe903f40, v95
	v_add_f32_e32 v92, v93, v92
	v_fmamk_f32 v78, v67, 0xbf27a4f4, v73
	v_fmamk_f32 v93, v60, 0xbf75a155, v80
	v_add_f32_e32 v87, v94, v87
	v_fma_f32 v94, 0xbf75a155, v62, -v85
	v_mul_f32_e32 v99, 0xbe903f40, v4
	v_add_f32_e32 v0, v78, v0
	v_add_f32_e32 v104, v93, v92
	v_mul_f32_e32 v92, 0xbe903f40, v1
	v_mul_f32_e32 v78, 0xbf0a6770, v95
	v_add_f32_e32 v105, v94, v87
	v_mul_f32_e32 v94, 0x3f0a6770, v5
	v_fma_f32 v5, 0xbf75a155, v54, -v99
	v_fmamk_f32 v1, v53, 0xbf75a155, v92
	v_mul_f32_e32 v98, 0x3f0a6770, v6
	v_fma_f32 v91, 0x3f575c64, v62, -v78
	v_fmamk_f32 v6, v52, 0x3f575c64, v94
	v_mul_f32_e32 v93, 0xbf4178ce, v7
	v_add_f32_e32 v1, v1, v8
	v_add_f32_e32 v5, v5, v9
	v_fma_f32 v7, 0x3f575c64, v55, -v98
	v_mul_f32_e32 v97, 0xbf4178ce, v45
	v_add_f32_e32 v102, v91, v82
	v_add_f32_e32 v1, v6, v1
	v_fmamk_f32 v6, v56, 0xbf27a4f4, v93
	v_mul_f32_e32 v91, 0x3f68dda4, v90
	v_add_f32_e32 v5, v7, v5
	v_fma_f32 v7, 0xbf27a4f4, v58, -v97
	v_mul_f32_e32 v96, 0x3f68dda4, v95
	v_mul_f32_e32 v79, 0xbf4178ce, v101
	;; [unrolled: 1-line block ×4, first 2 shown]
	v_add_f32_e32 v1, v6, v1
	v_fmamk_f32 v6, v60, 0x3ed4b147, v91
	v_mul_f32_e32 v90, 0xbf7d64f0, v100
	v_add_f32_e32 v5, v7, v5
	v_fma_f32 v7, 0x3ed4b147, v62, -v96
	v_mul_f32_e32 v95, 0xbf7d64f0, v101
	v_fma_f32 v103, 0xbf27a4f4, v68, -v79
	v_fmamk_f32 v4, v67, 0x3ed4b147, v82
	v_fma_f32 v45, 0x3ed4b147, v68, -v87
	v_add_f32_e32 v100, v6, v1
	v_fmamk_f32 v101, v67, 0xbe11bafb, v90
	v_add_f32_e32 v5, v7, v5
	v_fma_f32 v106, 0xbe11bafb, v68, -v95
	v_add_f32_e32 v1, v103, v102
	v_add_f32_e32 v6, v4, v104
	;; [unrolled: 1-line block ×5, first 2 shown]
	v_mul_lo_u16 v45, v43, 11
	s_barrier
	buffer_gl0_inv
	s_and_saveexec_b32 s0, vcc_lo
	s_cbranch_execz .LBB0_7
; %bb.6:
	v_mul_f32_e32 v100, 0xbf75a155, v54
	v_mul_f32_e32 v103, 0x3f575c64, v55
	;; [unrolled: 1-line block ×5, first 2 shown]
	v_add_f32_e32 v99, v99, v100
	v_add_f32_e32 v98, v98, v103
	v_sub_f32_e32 v92, v105, v92
	v_add_f32_e32 v97, v97, v107
	v_sub_f32_e32 v94, v108, v94
	v_add_f32_e32 v99, v99, v9
	v_mul_f32_e32 v102, 0x3f575c64, v54
	v_add_f32_e32 v92, v92, v8
	v_mul_f32_e32 v100, 0x3ed4b147, v54
	v_mul_f32_e32 v103, 0xbe11bafb, v54
	v_add_f32_e32 v98, v98, v99
	v_mul_f32_e32 v54, 0xbf27a4f4, v54
	v_add_f32_e32 v92, v94, v92
	v_mul_f32_e32 v101, 0x3f575c64, v53
	v_mul_f32_e32 v104, 0x3ed4b147, v53
	v_add_f32_e32 v97, v97, v98
	v_mul_f32_e32 v98, 0xbf27a4f4, v56
	v_mul_f32_e32 v106, 0xbe11bafb, v53
	;; [unrolled: 1-line block ×5, first 2 shown]
	v_sub_f32_e32 v93, v98, v93
	v_add_f32_e32 v54, v89, v54
	v_mul_f32_e32 v89, 0xbe11bafb, v55
	v_mul_f32_e32 v105, 0x3ed4b147, v52
	;; [unrolled: 1-line block ×3, first 2 shown]
	v_add_f32_e32 v92, v93, v92
	v_mul_f32_e32 v93, 0x3ed4b147, v60
	v_add_f32_e32 v94, v95, v94
	v_mul_f32_e32 v95, 0xbf75a155, v52
	v_mul_f32_e32 v52, 0xbe11bafb, v52
	v_sub_f32_e32 v53, v53, v83
	v_sub_f32_e32 v91, v93, v91
	v_mul_f32_e32 v93, 0xbe11bafb, v67
	v_add_f32_e32 v96, v96, v99
	v_add_f32_e32 v88, v88, v89
	;; [unrolled: 1-line block ×4, first 2 shown]
	v_sub_f32_e32 v90, v93, v90
	v_mul_f32_e32 v93, 0x3f575c64, v58
	v_add_f32_e32 v10, v10, v8
	v_sub_f32_e32 v52, v52, v84
	v_add_f32_e32 v53, v53, v8
	v_mul_f32_e32 v99, 0x3ed4b147, v55
	v_add_f32_e32 v96, v96, v97
	v_mul_f32_e32 v97, 0xbf27a4f4, v55
	v_mul_f32_e32 v55, 0xbf75a155, v55
	v_mul_f32_e32 v89, 0xbe11bafb, v56
	v_add_f32_e32 v54, v88, v54
	v_mul_f32_e32 v88, 0xbf75a155, v56
	v_add_f32_e32 v86, v86, v93
	v_mul_f32_e32 v93, 0x3ed4b147, v56
	v_mul_f32_e32 v84, 0xbf75a155, v62
	v_mul_f32_e32 v56, 0x3f575c64, v56
	v_add_f32_e32 v11, v25, v11
	v_add_f32_e32 v24, v24, v10
	;; [unrolled: 1-line block ×5, first 2 shown]
	v_mul_f32_e32 v86, 0xbf27a4f4, v60
	v_add_f32_e32 v84, v85, v84
	v_mul_f32_e32 v107, 0xbe11bafb, v60
	v_sub_f32_e32 v56, v56, v81
	v_mul_f32_e32 v81, 0x3f575c64, v60
	v_add_f32_e32 v55, v76, v55
	v_mul_f32_e32 v76, 0x3ed4b147, v68
	v_mul_f32_e32 v60, 0xbf75a155, v60
	v_add_f32_e32 v11, v27, v11
	v_add_f32_e32 v24, v26, v24
	;; [unrolled: 1-line block ×3, first 2 shown]
	v_mul_f32_e32 v92, 0xbe11bafb, v58
	v_mul_f32_e32 v83, 0xbf75a155, v58
	;; [unrolled: 1-line block ×3, first 2 shown]
	v_add_f32_e32 v53, v53, v9
	v_add_f32_e32 v54, v84, v54
	;; [unrolled: 1-line block ×4, first 2 shown]
	v_sub_f32_e32 v60, v60, v80
	v_add_f32_e32 v11, v21, v11
	v_add_f32_e32 v20, v20, v24
	v_mul_f32_e32 v85, 0xbf27a4f4, v62
	v_mul_f32_e32 v77, 0xbe11bafb, v62
	;; [unrolled: 1-line block ×3, first 2 shown]
	v_add_f32_e32 v108, v55, v53
	v_add_f32_e32 v58, v75, v58
	;; [unrolled: 1-line block ×4, first 2 shown]
	v_sub_f32_e32 v56, v106, v74
	v_add_f32_e32 v63, v63, v100
	v_sub_f32_e32 v47, v104, v47
	v_add_f32_e32 v34, v34, v102
	;; [unrolled: 2-line block ×3, first 2 shown]
	v_add_f32_e32 v20, v22, v20
	v_mul_f32_e32 v84, 0xbf75a155, v67
	v_mul_f32_e32 v87, 0xbf75a155, v68
	;; [unrolled: 1-line block ×7, first 2 shown]
	v_add_f32_e32 v58, v58, v108
	v_add_f32_e32 v60, v78, v62
	;; [unrolled: 1-line block ×8, first 2 shown]
	v_sub_f32_e32 v24, v105, v35
	v_add_f32_e32 v11, v13, v11
	v_add_f32_e32 v12, v12, v20
	v_sub_f32_e32 v62, v67, v82
	v_sub_f32_e32 v67, v95, v70
	v_add_f32_e32 v58, v60, v58
	v_add_f32_e32 v60, v79, v68
	v_add_f32_e32 v65, v65, v97
	v_sub_f32_e32 v59, v98, v59
	v_add_f32_e32 v9, v21, v9
	v_add_f32_e32 v21, v38, v92
	v_add_f32_e32 v8, v24, v8
	;; [unrolled: 4-line block ×4, first 2 shown]
	v_add_f32_e32 v47, v59, v47
	v_sub_f32_e32 v59, v88, v61
	v_add_f32_e32 v9, v21, v9
	v_add_f32_e32 v20, v48, v85
	v_add_f32_e32 v8, v13, v8
	v_sub_f32_e32 v13, v86, v46
	v_add_f32_e32 v11, v17, v11
	v_add_f32_e32 v12, v16, v12
	;; [unrolled: 4-line block ×5, first 2 shown]
	v_and_b32_e32 v17, 0xffff, v45
	v_add_f32_e32 v56, v64, v56
	v_sub_f32_e32 v64, v109, v73
	v_add_f32_e32 v58, v63, v58
	v_add_f32_e32 v61, v69, v80
	;; [unrolled: 1-line block ×3, first 2 shown]
	v_sub_f32_e32 v26, v103, v57
	v_add_f32_e32 v12, v14, v9
	v_add_f32_e32 v11, v13, v8
	;; [unrolled: 1-line block ×4, first 2 shown]
	v_add_lshl_u32 v8, v41, v17, 3
	v_add_f32_e32 v59, v64, v56
	v_add_f32_e32 v10, v61, v58
	;; [unrolled: 1-line block ×6, first 2 shown]
	ds_write2_b64 v8, v[13:14], v[11:12] offset1:1
	ds_write2_b64 v8, v[9:10], v[59:60] offset0:2 offset1:3
	ds_write2_b64 v8, v[54:55], v[52:53] offset0:4 offset1:5
	;; [unrolled: 1-line block ×4, first 2 shown]
	ds_write_b64 v8, v[29:30] offset:80
.LBB0_7:
	s_or_b32 exec_lo, exec_lo, s0
	v_add_nc_u32_e32 v8, -11, v43
	v_cmp_gt_u16_e64 s0, 11, v43
	s_load_dwordx4 s[4:7], s[6:7], 0x0
	s_waitcnt lgkmcnt(0)
	s_barrier
	buffer_gl0_inv
	v_cndmask_b32_e64 v33, v8, v43, s0
	v_add_lshl_u32 v47, v41, v43, 3
	v_mul_i32_i24_e32 v8, 40, v33
	v_mul_hi_i32_i24_e32 v9, 40, v33
	v_add_co_u32 v16, s0, s2, v8
	v_add_co_ci_u32_e64 v17, s0, s3, v9, s0
	v_cmp_lt_u16_e64 s0, 10, v43
	s_clause 0x2
	global_load_dwordx4 v[12:15], v[16:17], off
	global_load_dwordx4 v[8:11], v[16:17], off offset:16
	global_load_dwordx2 v[31:32], v[16:17], off offset:32
	ds_read2_b64 v[16:19], v47 offset1:22
	ds_read2_b64 v[20:23], v47 offset0:44 offset1:66
	ds_read2_b64 v[24:27], v47 offset0:88 offset1:110
	v_cndmask_b32_e64 v34, 0, 0x42, s0
	s_waitcnt vmcnt(0) lgkmcnt(0)
	s_barrier
	buffer_gl0_inv
	v_add_nc_u32_e32 v33, v33, v34
	v_add_lshl_u32 v48, v41, v33, 3
	v_mul_f32_e32 v33, v19, v13
	v_mul_f32_e32 v34, v18, v13
	v_mul_f32_e32 v35, v21, v15
	v_mul_f32_e32 v36, v20, v15
	v_mul_f32_e32 v37, v23, v9
	v_mul_f32_e32 v38, v22, v9
	v_mul_f32_e32 v46, v25, v11
	v_mul_f32_e32 v49, v24, v11
	v_mul_f32_e32 v50, v27, v32
	v_mul_f32_e32 v51, v26, v32
	v_fma_f32 v33, v18, v12, -v33
	v_fmac_f32_e32 v34, v19, v12
	v_fma_f32 v18, v20, v14, -v35
	v_fmac_f32_e32 v36, v21, v14
	v_fma_f32 v19, v22, v8, -v37
	v_fmac_f32_e32 v38, v23, v8
	v_fma_f32 v20, v24, v10, -v46
	v_fmac_f32_e32 v49, v25, v10
	v_fma_f32 v21, v26, v31, -v50
	v_fmac_f32_e32 v51, v27, v31
	v_add_f32_e32 v25, v17, v36
	v_add_f32_e32 v23, v18, v20
	v_sub_f32_e32 v24, v36, v49
	v_add_f32_e32 v26, v36, v49
	v_add_f32_e32 v35, v19, v21
	v_sub_f32_e32 v36, v38, v51
	v_add_f32_e32 v37, v34, v38
	v_add_f32_e32 v38, v38, v51
	v_add_f32_e32 v22, v16, v18
	v_add_f32_e32 v27, v33, v19
	v_sub_f32_e32 v19, v19, v21
	v_fma_f32 v46, -0.5, v23, v16
	v_fmac_f32_e32 v33, -0.5, v35
	v_fmac_f32_e32 v34, -0.5, v38
	v_sub_f32_e32 v18, v18, v20
	v_add_f32_e32 v20, v22, v20
	v_add_f32_e32 v22, v25, v49
	v_fma_f32 v49, -0.5, v26, v17
	v_fmamk_f32 v25, v24, 0x3f5db3d7, v46
	v_fmac_f32_e32 v46, 0xbf5db3d7, v24
	v_fmamk_f32 v24, v36, 0x3f5db3d7, v33
	v_fmamk_f32 v26, v19, 0xbf5db3d7, v34
	v_fmac_f32_e32 v33, 0xbf5db3d7, v36
	v_fmac_f32_e32 v34, 0x3f5db3d7, v19
	v_add_f32_e32 v23, v37, v51
	v_mul_f32_e32 v37, 0xbf5db3d7, v24
	v_mul_f32_e32 v35, 0x3f5db3d7, v26
	v_mul_f32_e32 v36, -0.5, v33
	v_mul_f32_e32 v38, -0.5, v34
	v_add_f32_e32 v21, v27, v21
	v_fmamk_f32 v27, v18, 0xbf5db3d7, v49
	v_fmac_f32_e32 v35, 0.5, v24
	v_fmac_f32_e32 v37, 0.5, v26
	v_fmac_f32_e32 v49, 0x3f5db3d7, v18
	v_fmac_f32_e32 v36, 0x3f5db3d7, v34
	;; [unrolled: 1-line block ×3, first 2 shown]
	v_add_f32_e32 v16, v20, v21
	v_add_f32_e32 v17, v22, v23
	v_sub_f32_e32 v18, v20, v21
	v_add_f32_e32 v20, v25, v35
	v_add_f32_e32 v21, v27, v37
	v_sub_f32_e32 v19, v22, v23
	;; [unrolled: 3-line block ×3, first 2 shown]
	v_sub_f32_e32 v26, v46, v36
	v_sub_f32_e32 v25, v27, v37
	;; [unrolled: 1-line block ×3, first 2 shown]
	ds_write2_b64 v48, v[16:17], v[20:21] offset1:11
	ds_write2_b64 v48, v[22:23], v[18:19] offset0:22 offset1:33
	ds_write2_b64 v48, v[24:25], v[26:27] offset0:44 offset1:55
	s_waitcnt lgkmcnt(0)
	s_barrier
	buffer_gl0_inv
	s_clause 0x2
	global_load_dwordx2 v[37:38], v42, s[2:3] offset:440
	global_load_dwordx2 v[33:34], v42, s[2:3] offset:616
	;; [unrolled: 1-line block ×3, first 2 shown]
	ds_read2_b64 v[20:23], v47 offset0:44 offset1:66
	ds_read2_b64 v[16:19], v47 offset0:88 offset1:110
	ds_read2_b64 v[49:52], v47 offset1:22
	v_lshl_add_u32 v46, v43, 3, v44
	s_waitcnt vmcnt(2) lgkmcnt(2)
	v_mul_f32_e32 v24, v23, v38
	v_mul_f32_e32 v25, v22, v38
	s_waitcnt vmcnt(1) lgkmcnt(1)
	v_mul_f32_e32 v26, v17, v34
	v_mul_f32_e32 v27, v16, v34
	s_waitcnt vmcnt(0)
	v_mul_f32_e32 v53, v19, v36
	v_mul_f32_e32 v54, v18, v36
	v_fma_f32 v22, v22, v37, -v24
	v_fmac_f32_e32 v25, v23, v37
	v_fma_f32 v16, v16, v33, -v26
	v_fmac_f32_e32 v27, v17, v33
	;; [unrolled: 2-line block ×3, first 2 shown]
	s_waitcnt lgkmcnt(0)
	v_sub_f32_e32 v18, v49, v22
	v_sub_f32_e32 v19, v50, v25
	;; [unrolled: 1-line block ×6, first 2 shown]
	v_fma_f32 v16, v49, 2.0, -v18
	v_fma_f32 v17, v50, 2.0, -v19
	;; [unrolled: 1-line block ×6, first 2 shown]
	v_add_nc_u32_e32 v49, v42, v44
	ds_write_b64 v46, v[26:27] offset:704
	ds_write2_b64 v46, v[16:17], v[24:25] offset1:22
	ds_write2_b64 v46, v[20:21], v[18:19] offset0:44 offset1:66
	ds_write_b64 v49, v[22:23] offset:880
	s_waitcnt lgkmcnt(0)
	s_barrier
	buffer_gl0_inv
	s_and_saveexec_b32 s2, vcc_lo
	s_cbranch_execz .LBB0_9
; %bb.8:
	s_add_u32 s0, s14, 0x420
	s_addc_u32 s1, s15, 0
	s_clause 0xa
	global_load_dwordx2 v[70:71], v42, s[14:15] offset:1056
	global_load_dwordx2 v[72:73], v42, s[0:1] offset:96
	;; [unrolled: 1-line block ×11, first 2 shown]
	ds_read2_b64 v[50:53], v46 offset1:12
	ds_read2_b64 v[54:57], v46 offset0:24 offset1:36
	ds_read2_b64 v[58:61], v46 offset0:48 offset1:60
	;; [unrolled: 1-line block ×4, first 2 shown]
	ds_read_b64 v[92:93], v46 offset:960
	s_waitcnt vmcnt(10) lgkmcnt(5)
	v_mul_f32_e32 v94, v51, v71
	v_mul_f32_e32 v95, v50, v71
	s_waitcnt vmcnt(9)
	v_mul_f32_e32 v96, v53, v73
	v_mul_f32_e32 v71, v52, v73
	s_waitcnt vmcnt(8) lgkmcnt(4)
	v_mul_f32_e32 v97, v55, v75
	v_mul_f32_e32 v73, v54, v75
	s_waitcnt vmcnt(7)
	v_mul_f32_e32 v98, v57, v77
	v_mul_f32_e32 v75, v56, v77
	;; [unrolled: 6-line block ×5, first 2 shown]
	s_waitcnt vmcnt(0) lgkmcnt(0)
	v_mul_f32_e32 v105, v93, v91
	v_mul_f32_e32 v89, v92, v91
	v_fma_f32 v94, v50, v70, -v94
	v_fmac_f32_e32 v95, v51, v70
	v_fma_f32 v70, v52, v72, -v96
	v_fmac_f32_e32 v71, v53, v72
	;; [unrolled: 2-line block ×11, first 2 shown]
	ds_write2_b64 v46, v[94:95], v[70:71] offset1:12
	ds_write2_b64 v46, v[72:73], v[74:75] offset0:24 offset1:36
	ds_write2_b64 v46, v[76:77], v[78:79] offset0:48 offset1:60
	;; [unrolled: 1-line block ×4, first 2 shown]
	ds_write_b64 v46, v[88:89] offset:960
.LBB0_9:
	s_or_b32 exec_lo, exec_lo, s2
	s_waitcnt lgkmcnt(0)
	s_barrier
	buffer_gl0_inv
	s_and_saveexec_b32 s0, vcc_lo
	s_cbranch_execz .LBB0_11
; %bb.10:
	ds_read2_b64 v[16:19], v46 offset1:12
	ds_read2_b64 v[24:27], v46 offset0:24 offset1:36
	ds_read2_b64 v[20:23], v46 offset0:48 offset1:60
	;; [unrolled: 1-line block ×4, first 2 shown]
	ds_read_b64 v[29:30], v46 offset:960
.LBB0_11:
	s_or_b32 exec_lo, exec_lo, s0
	v_add_nc_u32_e32 v49, 0x160, v49
	s_waitcnt lgkmcnt(0)
	s_barrier
	buffer_gl0_inv
	s_and_saveexec_b32 s0, vcc_lo
	s_cbranch_execz .LBB0_13
; %bb.12:
	v_add_f32_e32 v56, v30, v19
	v_sub_f32_e32 v58, v18, v29
	v_add_f32_e32 v59, v3, v25
	v_sub_f32_e32 v60, v24, v2
	v_add_f32_e32 v61, v1, v27
	v_mul_f32_e32 v62, 0xbf75a155, v56
	v_sub_f32_e32 v68, v19, v30
	v_mul_f32_e32 v66, 0x3f575c64, v59
	v_sub_f32_e32 v63, v26, v0
	v_add_f32_e32 v64, v7, v21
	v_fmamk_f32 v50, v58, 0x3e903f40, v62
	v_mul_f32_e32 v69, 0xbf27a4f4, v61
	v_fmamk_f32 v51, v60, 0xbf0a6770, v66
	v_add_f32_e32 v70, v29, v18
	v_mul_f32_e32 v72, 0xbe903f40, v68
	v_add_f32_e32 v50, v17, v50
	v_sub_f32_e32 v73, v25, v3
	v_sub_f32_e32 v65, v20, v6
	v_add_f32_e32 v67, v5, v23
	v_mul_f32_e32 v71, 0x3ed4b147, v64
	v_fmamk_f32 v52, v63, 0x3f4178ce, v69
	v_add_f32_e32 v50, v51, v50
	v_add_f32_e32 v74, v2, v24
	v_fmamk_f32 v53, v70, 0xbf75a155, v72
	v_mul_f32_e32 v75, 0x3f0a6770, v73
	v_sub_f32_e32 v77, v27, v1
	v_fmamk_f32 v51, v65, 0xbf68dda4, v71
	v_add_f32_e32 v50, v52, v50
	v_mul_f32_e32 v76, 0xbe11bafb, v67
	v_sub_f32_e32 v78, v22, v4
	v_add_f32_e32 v52, v16, v53
	v_fmamk_f32 v53, v74, 0x3f575c64, v75
	v_add_f32_e32 v79, v0, v26
	v_mul_f32_e32 v80, 0xbf4178ce, v77
	v_add_f32_e32 v50, v51, v50
	v_fmamk_f32 v51, v78, 0x3f7d64f0, v76
	v_add_f32_e32 v52, v53, v52
	v_mul_f32_e32 v81, 0xbf27a4f4, v56
	v_fmamk_f32 v53, v79, 0xbf27a4f4, v80
	v_sub_f32_e32 v82, v21, v7
	v_add_f32_e32 v51, v51, v50
	v_mul_f32_e32 v83, 0xbe11bafb, v59
	v_add_f32_e32 v84, v6, v20
	v_add_f32_e32 v50, v53, v52
	v_fmamk_f32 v52, v58, 0x3f4178ce, v81
	v_mul_f32_e32 v85, 0x3f68dda4, v82
	v_sub_f32_e32 v86, v23, v5
	v_fmamk_f32 v53, v60, 0xbf7d64f0, v83
	v_mul_f32_e32 v87, 0x3f575c64, v61
	v_add_f32_e32 v52, v17, v52
	v_fmamk_f32 v54, v84, 0x3ed4b147, v85
	v_add_f32_e32 v88, v4, v22
	v_mul_f32_e32 v89, 0xbf7d64f0, v86
	v_mul_f32_e32 v90, 0xbf75a155, v64
	v_add_f32_e32 v52, v53, v52
	v_fmamk_f32 v53, v63, 0x3f0a6770, v87
	v_add_f32_e32 v50, v54, v50
	v_fmamk_f32 v54, v88, 0xbe11bafb, v89
	v_mul_f32_e32 v91, 0xbf4178ce, v68
	v_mul_f32_e32 v92, 0x3ed4b147, v67
	v_add_f32_e32 v52, v53, v52
	v_fmamk_f32 v53, v65, 0x3e903f40, v90
	v_add_f32_e32 v50, v54, v50
	v_fmamk_f32 v54, v70, 0xbf27a4f4, v91
	;; [unrolled: 6-line block ×4, first 2 shown]
	v_mul_f32_e32 v97, 0xbe903f40, v82
	v_fmamk_f32 v57, v60, 0xbe903f40, v96
	v_add_f32_e32 v52, v17, v52
	v_mul_f32_e32 v98, 0x3ed4b147, v61
	v_add_f32_e32 v54, v55, v54
	v_fmamk_f32 v55, v84, 0xbf75a155, v97
	v_mul_f32_e32 v99, 0x3f68dda4, v86
	v_add_f32_e32 v52, v57, v52
	v_fmamk_f32 v57, v63, 0xbf68dda4, v98
	;; [unrolled: 3-line block ×4, first 2 shown]
	v_mul_f32_e32 v107, 0xbf27a4f4, v59
	v_add_f32_e32 v52, v55, v54
	v_mul_f32_e32 v110, 0xbf75a155, v61
	v_mul_f32_e32 v112, 0xbe11bafb, v64
	v_add_f32_e32 v55, v102, v57
	v_fmamk_f32 v57, v78, 0x3f4178ce, v103
	v_mul_f32_e32 v102, 0x3ed4b147, v56
	v_fmamk_f32 v109, v60, 0x3f4178ce, v107
	v_mul_f32_e32 v114, 0x3f575c64, v67
	v_add_f32_e32 v19, v19, v17
	v_add_f32_e32 v55, v57, v55
	v_fmamk_f32 v57, v58, 0x3f68dda4, v102
	v_mul_f32_e32 v116, 0x3f575c64, v56
	v_add_f32_e32 v18, v18, v16
	v_add_f32_e32 v19, v25, v19
	v_mul_f32_e32 v59, 0x3ed4b147, v59
	v_add_f32_e32 v57, v17, v57
	v_mul_f32_e32 v61, 0xbe11bafb, v61
	v_add_f32_e32 v18, v24, v18
	v_add_f32_e32 v19, v27, v19
	v_fmamk_f32 v119, v60, 0x3f68dda4, v59
	v_add_f32_e32 v57, v109, v57
	v_fmamk_f32 v109, v63, 0xbe903f40, v110
	v_add_f32_e32 v18, v26, v18
	v_add_f32_e32 v19, v21, v19
	v_mul_f32_e32 v64, 0xbf27a4f4, v64
	v_mul_f32_e32 v25, 0xbf0a6770, v68
	v_add_f32_e32 v57, v109, v57
	v_fmamk_f32 v109, v65, 0xbf7d64f0, v112
	v_add_f32_e32 v19, v23, v19
	v_add_f32_e32 v18, v20, v18
	v_fmamk_f32 v24, v70, 0x3f575c64, v25
	v_mul_f32_e32 v27, 0xbf68dda4, v73
	v_add_f32_e32 v57, v109, v57
	v_fmamk_f32 v109, v78, 0xbf0a6770, v114
	v_mul_f32_e32 v67, 0xbf75a155, v67
	v_add_f32_e32 v19, v5, v19
	v_add_f32_e32 v18, v22, v18
	v_mul_f32_e32 v101, 0xbf7d64f0, v68
	v_add_f32_e32 v57, v109, v57
	v_fmamk_f32 v109, v58, 0x3f0a6770, v116
	v_mul_f32_e32 v113, 0xbf68dda4, v68
	v_add_f32_e32 v21, v16, v24
	v_fmamk_f32 v24, v74, 0x3ed4b147, v27
	v_mul_f32_e32 v26, 0xbf7d64f0, v77
	v_add_f32_e32 v109, v17, v109
	v_fmamk_f32 v20, v78, 0x3e903f40, v67
	v_add_f32_e32 v7, v7, v19
	v_add_f32_e32 v4, v4, v18
	v_fmac_f32_e32 v62, 0xbe903f40, v58
	v_add_f32_e32 v109, v119, v109
	v_fmamk_f32 v119, v63, 0x3f7d64f0, v61
	v_add_f32_e32 v21, v24, v21
	v_fmamk_f32 v23, v79, 0xbe11bafb, v26
	v_add_f32_e32 v1, v1, v7
	v_add_f32_e32 v4, v6, v4
	;; [unrolled: 1-line block ×3, first 2 shown]
	v_fmamk_f32 v119, v65, 0x3f4178ce, v64
	v_add_f32_e32 v6, v17, v62
	v_fmac_f32_e32 v66, 0x3f0a6770, v60
	v_add_f32_e32 v21, v23, v21
	v_mul_f32_e32 v22, 0xbe903f40, v86
	v_add_f32_e32 v68, v119, v109
	v_add_f32_e32 v1, v3, v1
	;; [unrolled: 1-line block ×4, first 2 shown]
	v_fmac_f32_e32 v69, 0xbf4178ce, v63
	v_add_f32_e32 v5, v20, v68
	v_mul_f32_e32 v20, 0xbf4178ce, v82
	v_fma_f32 v6, 0xbf75a155, v70, -v72
	v_add_f32_e32 v0, v2, v0
	v_add_f32_e32 v2, v69, v3
	v_fmac_f32_e32 v71, 0x3f68dda4, v65
	v_fmamk_f32 v18, v84, 0xbf27a4f4, v20
	v_add_f32_e32 v3, v16, v6
	v_fma_f32 v6, 0x3f575c64, v74, -v75
	v_fmac_f32_e32 v81, 0xbf4178ce, v58
	v_add_f32_e32 v2, v71, v2
	v_add_f32_e32 v7, v18, v21
	v_fmamk_f32 v18, v88, 0xbf75a155, v22
	v_fmac_f32_e32 v76, 0xbf7d64f0, v78
	v_add_f32_e32 v6, v6, v3
	v_fmac_f32_e32 v83, 0x3f7d64f0, v60
	v_fmac_f32_e32 v87, 0xbf0a6770, v63
	v_add_f32_e32 v4, v18, v7
	v_fma_f32 v7, 0xbf27a4f4, v79, -v80
	v_add_f32_e32 v18, v17, v81
	v_add_f32_e32 v3, v76, v2
	v_fma_f32 v2, 0xbf27a4f4, v70, -v91
	v_fma_f32 v19, 0xbe11bafb, v74, -v93
	v_add_f32_e32 v6, v7, v6
	v_fma_f32 v7, 0x3ed4b147, v84, -v85
	v_add_f32_e32 v18, v83, v18
	v_add_f32_e32 v2, v16, v2
	v_fmac_f32_e32 v90, 0xbe903f40, v65
	v_fma_f32 v21, 0x3f575c64, v79, -v95
	v_add_f32_e32 v6, v7, v6
	v_fma_f32 v7, 0xbe11bafb, v88, -v89
	v_add_f32_e32 v18, v87, v18
	v_add_f32_e32 v19, v19, v2
	v_fmac_f32_e32 v94, 0xbf7d64f0, v58
	v_fmac_f32_e32 v92, 0x3f68dda4, v78
	v_add_f32_e32 v2, v7, v6
	v_add_f32_e32 v6, v90, v18
	v_fmamk_f32 v54, v70, 0xbe11bafb, v101
	v_mul_f32_e32 v104, 0x3e903f40, v73
	v_add_f32_e32 v18, v21, v19
	v_fma_f32 v19, 0xbf75a155, v84, -v97
	v_add_f32_e32 v21, v17, v94
	v_fmac_f32_e32 v96, 0x3e903f40, v60
	v_add_f32_e32 v7, v92, v6
	v_fma_f32 v6, 0xbe11bafb, v70, -v101
	v_add_f32_e32 v54, v16, v54
	v_fmamk_f32 v105, v74, 0xbf75a155, v104
	v_mul_f32_e32 v106, 0x3f68dda4, v77
	v_add_f32_e32 v18, v19, v18
	v_fma_f32 v19, 0x3ed4b147, v88, -v99
	v_add_f32_e32 v21, v96, v21
	v_fmac_f32_e32 v98, 0x3f68dda4, v63
	v_add_f32_e32 v23, v16, v6
	v_fma_f32 v24, 0xbf75a155, v74, -v104
	v_fmac_f32_e32 v102, 0xbf68dda4, v58
	v_add_f32_e32 v54, v105, v54
	v_fmamk_f32 v105, v79, 0x3ed4b147, v106
	v_mul_f32_e32 v108, 0xbf0a6770, v82
	v_add_f32_e32 v6, v19, v18
	v_add_f32_e32 v18, v98, v21
	v_fmac_f32_e32 v100, 0xbf0a6770, v65
	v_add_f32_e32 v19, v24, v23
	v_fma_f32 v21, 0x3ed4b147, v79, -v106
	v_add_f32_e32 v23, v17, v102
	v_fmac_f32_e32 v107, 0xbf4178ce, v60
	v_add_f32_e32 v54, v105, v54
	v_fmamk_f32 v105, v84, 0x3f575c64, v108
	v_mul_f32_e32 v111, 0xbf4178ce, v86
	v_add_f32_e32 v18, v100, v18
	v_fmac_f32_e32 v103, 0xbf4178ce, v78
	v_add_f32_e32 v21, v21, v19
	v_fma_f32 v24, 0x3f575c64, v84, -v108
	v_add_f32_e32 v23, v107, v23
	v_fmac_f32_e32 v110, 0x3e903f40, v63
	v_add_f32_e32 v54, v105, v54
	v_fmamk_f32 v105, v88, 0xbf27a4f4, v111
	v_mul_f32_e32 v115, 0xbf4178ce, v73
	v_add_f32_e32 v19, v103, v18
	v_fma_f32 v18, 0x3ed4b147, v70, -v113
	v_add_f32_e32 v21, v24, v21
	v_fma_f32 v24, 0xbf27a4f4, v88, -v111
	v_add_f32_e32 v23, v110, v23
	v_fmac_f32_e32 v112, 0x3f7d64f0, v65
	v_add_f32_e32 v54, v105, v54
	v_fmamk_f32 v105, v70, 0x3ed4b147, v113
	v_mul_f32_e32 v117, 0x3e903f40, v77
	v_add_f32_e32 v1, v30, v1
	v_add_f32_e32 v0, v29, v0
	;; [unrolled: 1-line block ×3, first 2 shown]
	v_fma_f32 v30, 0xbf27a4f4, v74, -v115
	v_add_f32_e32 v18, v24, v21
	v_fmac_f32_e32 v116, 0xbf0a6770, v58
	v_add_f32_e32 v21, v112, v23
	v_fma_f32 v23, 0x3f575c64, v70, -v25
	v_add_f32_e32 v56, v16, v105
	v_fmamk_f32 v105, v74, 0xbf27a4f4, v115
	v_mul_f32_e32 v118, 0x3f7d64f0, v82
	v_add_f32_e32 v24, v30, v29
	v_fma_f32 v25, 0xbf75a155, v79, -v117
	v_add_f32_e32 v17, v17, v116
	v_fmac_f32_e32 v59, 0xbf68dda4, v60
	v_add_f32_e32 v16, v16, v23
	v_fma_f32 v23, 0x3ed4b147, v74, -v27
	v_add_f32_e32 v56, v105, v56
	v_fmamk_f32 v105, v79, 0xbf75a155, v117
	v_add_f32_e32 v24, v25, v24
	v_fma_f32 v25, 0xbe11bafb, v84, -v118
	v_add_f32_e32 v17, v59, v17
	v_fmac_f32_e32 v61, 0xbf7d64f0, v63
	v_add_f32_e32 v16, v23, v16
	v_fma_f32 v23, 0xbe11bafb, v79, -v26
	v_add_f32_e32 v56, v105, v56
	v_fmamk_f32 v105, v84, 0xbe11bafb, v118
	v_mul_f32_e32 v120, 0x3f0a6770, v86
	v_add_f32_e32 v24, v25, v24
	v_add_f32_e32 v17, v61, v17
	v_fmac_f32_e32 v64, 0xbf4178ce, v65
	v_add_f32_e32 v16, v23, v16
	v_fma_f32 v20, 0xbf27a4f4, v84, -v20
	v_and_b32_e32 v25, 0xffff, v45
	v_add_f32_e32 v56, v105, v56
	v_fmamk_f32 v105, v88, 0x3f575c64, v120
	v_fmac_f32_e32 v114, 0x3f0a6770, v78
	v_fma_f32 v23, 0x3f575c64, v88, -v120
	v_add_f32_e32 v26, v64, v17
	v_fmac_f32_e32 v67, 0xbe903f40, v78
	v_add_f32_e32 v20, v20, v16
	v_fma_f32 v22, 0xbf75a155, v88, -v22
	v_lshl_add_u32 v25, v25, 3, v44
	v_add_f32_e32 v56, v105, v56
	v_add_f32_e32 v17, v114, v21
	;; [unrolled: 1-line block ×5, first 2 shown]
	ds_write2_b64 v25, v[0:1], v[4:5] offset1:1
	ds_write2_b64 v25, v[56:57], v[54:55] offset0:2 offset1:3
	ds_write2_b64 v25, v[52:53], v[50:51] offset0:4 offset1:5
	;; [unrolled: 1-line block ×4, first 2 shown]
	ds_write_b64 v25, v[20:21] offset:80
.LBB0_13:
	s_or_b32 exec_lo, exec_lo, s0
	s_waitcnt lgkmcnt(0)
	s_barrier
	buffer_gl0_inv
	ds_read2_b64 v[0:3], v47 offset1:22
	ds_read2_b64 v[4:7], v47 offset0:44 offset1:66
	ds_read2_b64 v[16:19], v47 offset0:88 offset1:110
	s_waitcnt lgkmcnt(0)
	s_barrier
	buffer_gl0_inv
	v_mul_f32_e32 v20, v13, v3
	v_mul_f32_e32 v21, v15, v5
	;; [unrolled: 1-line block ×9, first 2 shown]
	v_fmac_f32_e32 v21, v14, v4
	v_fmac_f32_e32 v23, v10, v16
	v_mul_f32_e32 v24, v32, v19
	v_fmac_f32_e32 v20, v12, v2
	v_fma_f32 v2, v12, v3, -v13
	v_fma_f32 v3, v14, v5, -v15
	v_fmac_f32_e32 v22, v8, v6
	v_fma_f32 v4, v8, v7, -v9
	v_fma_f32 v5, v10, v17, -v11
	;; [unrolled: 1-line block ×3, first 2 shown]
	v_add_f32_e32 v8, v21, v23
	v_fmac_f32_e32 v24, v31, v18
	v_add_f32_e32 v7, v0, v21
	v_sub_f32_e32 v9, v3, v5
	v_add_f32_e32 v10, v1, v3
	v_add_f32_e32 v3, v3, v5
	v_fma_f32 v13, -0.5, v8, v0
	v_add_f32_e32 v0, v4, v6
	v_add_f32_e32 v12, v22, v24
	v_sub_f32_e32 v11, v21, v23
	v_fma_f32 v14, -0.5, v3, v1
	v_add_f32_e32 v1, v2, v4
	v_fmac_f32_e32 v2, -0.5, v0
	v_sub_f32_e32 v0, v22, v24
	v_add_f32_e32 v15, v10, v5
	v_add_f32_e32 v3, v20, v22
	v_fmac_f32_e32 v20, -0.5, v12
	v_sub_f32_e32 v4, v4, v6
	v_fmamk_f32 v5, v0, 0x3f5db3d7, v2
	v_fmac_f32_e32 v2, 0xbf5db3d7, v0
	v_fmamk_f32 v8, v9, 0xbf5db3d7, v13
	v_fmac_f32_e32 v13, 0x3f5db3d7, v9
	;; [unrolled: 2-line block ×3, first 2 shown]
	v_add_f32_e32 v10, v3, v24
	v_fmamk_f32 v3, v4, 0xbf5db3d7, v20
	v_mul_f32_e32 v11, 0xbf5db3d7, v5
	v_mul_f32_e32 v17, 0.5, v5
	v_fmac_f32_e32 v20, 0x3f5db3d7, v4
	v_mul_f32_e32 v12, 0xbf5db3d7, v2
	v_mul_f32_e32 v18, -0.5, v2
	v_add_f32_e32 v7, v7, v23
	v_add_f32_e32 v16, v1, v6
	v_fmac_f32_e32 v11, 0.5, v3
	v_fmac_f32_e32 v17, 0x3f5db3d7, v3
	v_fmac_f32_e32 v12, -0.5, v20
	v_fmac_f32_e32 v18, 0x3f5db3d7, v20
	v_add_f32_e32 v0, v7, v10
	v_add_f32_e32 v2, v8, v11
	;; [unrolled: 1-line block ×6, first 2 shown]
	v_sub_f32_e32 v6, v7, v10
	v_sub_f32_e32 v7, v15, v16
	;; [unrolled: 1-line block ×6, first 2 shown]
	ds_write2_b64 v48, v[0:1], v[2:3] offset1:11
	ds_write2_b64 v48, v[4:5], v[6:7] offset0:22 offset1:33
	ds_write2_b64 v48, v[8:9], v[10:11] offset0:44 offset1:55
	s_waitcnt lgkmcnt(0)
	s_barrier
	buffer_gl0_inv
	ds_read2_b64 v[0:3], v47 offset0:44 offset1:66
	ds_read2_b64 v[4:7], v47 offset0:88 offset1:110
	ds_read2_b64 v[8:11], v47 offset1:22
	s_waitcnt lgkmcnt(2)
	v_mul_f32_e32 v13, v38, v2
	v_mul_f32_e32 v12, v38, v3
	s_waitcnt lgkmcnt(1)
	v_mul_f32_e32 v14, v34, v5
	v_mul_f32_e32 v15, v36, v7
	;; [unrolled: 1-line block ×3, first 2 shown]
	v_fma_f32 v3, v37, v3, -v13
	v_mul_f32_e32 v13, v34, v4
	v_fmac_f32_e32 v12, v37, v2
	v_fmac_f32_e32 v14, v33, v4
	;; [unrolled: 1-line block ×3, first 2 shown]
	s_waitcnt lgkmcnt(0)
	v_sub_f32_e32 v3, v9, v3
	v_fma_f32 v5, v33, v5, -v13
	v_fma_f32 v13, v35, v7, -v16
	v_sub_f32_e32 v2, v8, v12
	v_sub_f32_e32 v6, v10, v14
	;; [unrolled: 1-line block ×5, first 2 shown]
	v_fma_f32 v4, v8, 2.0, -v2
	v_fma_f32 v5, v9, 2.0, -v3
	;; [unrolled: 1-line block ×6, first 2 shown]
	ds_write2_b64 v46, v[4:5], v[8:9] offset1:22
	ds_write_b64 v46, v[6:7] offset:704
	ds_write2_b64 v46, v[0:1], v[2:3] offset0:44 offset1:66
	ds_write_b64 v49, v[12:13] offset:528
	s_waitcnt lgkmcnt(0)
	s_barrier
	buffer_gl0_inv
	s_and_b32 exec_lo, exec_lo, vcc_lo
	s_cbranch_execz .LBB0_15
; %bb.14:
	s_clause 0xa
	global_load_dwordx2 v[20:21], v42, s[14:15]
	global_load_dwordx2 v[22:23], v42, s[14:15] offset:96
	global_load_dwordx2 v[24:25], v42, s[14:15] offset:192
	;; [unrolled: 1-line block ×10, first 2 shown]
	v_mad_u64_u32 v[0:1], null, s6, v28, 0
	v_mad_u64_u32 v[2:3], null, s4, v43, 0
	;; [unrolled: 1-line block ×4, first 2 shown]
	v_lshl_add_u32 v19, v41, 3, v42
	ds_read_b64 v[49:50], v46
	v_mad_u64_u32 v[4:5], null, s7, v28, v[1:2]
	s_mul_i32 s2, s5, 0x60
	s_mul_hi_u32 s3, s4, 0x60
	v_mov_b32_e32 v12, v58
	s_mul_i32 s6, s4, 0x60
	s_add_i32 s3, s3, s2
	s_mov_b32 s0, 0xf07c1f08
	v_mad_u64_u32 v[5:6], null, s5, v43, v[3:4]
	v_mov_b32_e32 v1, v4
	s_mov_b32 s1, 0x3f7f07c1
	s_mul_i32 s2, s5, 0xc0
	v_lshlrev_b64 v[0:1], 3, v[0:1]
	v_mov_b32_e32 v3, v5
	v_add_co_u32 v67, vcc_lo, s12, v0
	v_lshlrev_b64 v[2:3], 3, v[2:3]
	v_mov_b32_e32 v0, v52
	v_add_co_ci_u32_e32 v68, vcc_lo, s13, v1, vcc_lo
	v_mad_u64_u32 v[16:17], null, s5, v40, v[0:1]
	v_add_co_u32 v53, vcc_lo, v67, v2
	v_mad_u64_u32 v[17:18], null, s5, v39, v[12:13]
	v_add_co_ci_u32_e32 v54, vcc_lo, v68, v3, vcc_lo
	ds_read2_b64 v[0:3], v19 offset0:12 offset1:24
	ds_read2_b64 v[4:7], v19 offset0:36 offset1:48
	;; [unrolled: 1-line block ×4, first 2 shown]
	v_mov_b32_e32 v52, v16
	v_add_co_u32 v55, vcc_lo, v53, s6
	v_mov_b32_e32 v58, v17
	ds_read2_b64 v[16:19], v19 offset0:108 offset1:120
	v_add_co_ci_u32_e32 v56, vcc_lo, s3, v54, vcc_lo
	v_add_co_u32 v59, vcc_lo, v55, s6
	v_lshlrev_b64 v[51:52], 3, v[51:52]
	v_add_co_ci_u32_e32 v60, vcc_lo, s3, v56, vcc_lo
	v_add_co_u32 v41, vcc_lo, v59, s6
	v_lshlrev_b64 v[57:58], 3, v[57:58]
	v_add_co_ci_u32_e32 v42, vcc_lo, s3, v60, vcc_lo
	v_mad_u64_u32 v[61:62], null, 0xc0, s4, v[41:42]
	v_add_nc_u32_e32 v62, s2, v62
	v_add_co_u32 v39, vcc_lo, v61, s6
	v_add_co_ci_u32_e32 v40, vcc_lo, s3, v62, vcc_lo
	v_add_co_u32 v63, vcc_lo, v39, s6
	v_add_co_ci_u32_e32 v64, vcc_lo, s3, v40, vcc_lo
	v_mad_u64_u32 v[65:66], null, 0xc0, s4, v[63:64]
	v_add_nc_u32_e32 v66, s2, v66
	s_waitcnt vmcnt(10) lgkmcnt(5)
	v_mul_f32_e32 v28, v50, v21
	v_mul_f32_e32 v21, v49, v21
	s_waitcnt vmcnt(9) lgkmcnt(4)
	v_mul_f32_e32 v43, v1, v23
	v_mul_f32_e32 v23, v0, v23
	s_waitcnt vmcnt(8)
	v_mul_f32_e32 v46, v3, v25
	v_mul_f32_e32 v25, v2, v25
	s_waitcnt vmcnt(7) lgkmcnt(3)
	v_mul_f32_e32 v69, v5, v27
	v_mul_f32_e32 v27, v4, v27
	s_waitcnt vmcnt(6)
	v_mul_f32_e32 v70, v7, v30
	v_mul_f32_e32 v30, v6, v30
	s_waitcnt vmcnt(5) lgkmcnt(2)
	v_mul_f32_e32 v71, v9, v32
	v_mul_f32_e32 v32, v8, v32
	v_fmac_f32_e32 v28, v49, v20
	v_fma_f32 v20, v20, v50, -v21
	s_waitcnt vmcnt(4)
	v_mul_f32_e32 v72, v11, v34
	v_mul_f32_e32 v34, v10, v34
	v_fmac_f32_e32 v43, v0, v22
	v_fma_f32 v21, v22, v1, -v23
	s_waitcnt vmcnt(3) lgkmcnt(1)
	v_mul_f32_e32 v73, v13, v36
	v_mul_f32_e32 v36, v12, v36
	v_fmac_f32_e32 v46, v2, v24
	v_fma_f32 v22, v24, v3, -v25
	s_waitcnt vmcnt(2)
	v_mul_f32_e32 v74, v15, v38
	v_mul_f32_e32 v38, v14, v38
	v_fmac_f32_e32 v69, v4, v26
	v_fma_f32 v23, v26, v5, -v27
	s_waitcnt vmcnt(1) lgkmcnt(0)
	v_mul_f32_e32 v75, v17, v45
	v_mul_f32_e32 v45, v16, v45
	s_waitcnt vmcnt(0)
	v_mul_f32_e32 v76, v19, v48
	v_mul_f32_e32 v48, v18, v48
	v_fmac_f32_e32 v70, v6, v29
	v_fma_f32 v24, v29, v7, -v30
	v_fmac_f32_e32 v71, v8, v31
	v_fma_f32 v25, v31, v9, -v32
	v_cvt_f64_f32_e32 v[0:1], v28
	v_cvt_f64_f32_e32 v[2:3], v20
	v_fmac_f32_e32 v72, v10, v33
	v_fma_f32 v26, v33, v11, -v34
	v_cvt_f64_f32_e32 v[4:5], v43
	v_cvt_f64_f32_e32 v[6:7], v21
	;; [unrolled: 4-line block ×4, first 2 shown]
	v_fmac_f32_e32 v75, v16, v44
	v_fma_f32 v38, v44, v17, -v45
	v_fmac_f32_e32 v76, v18, v47
	v_fma_f32 v47, v47, v19, -v48
	v_cvt_f64_f32_e32 v[16:17], v70
	v_cvt_f64_f32_e32 v[18:19], v24
	v_cvt_f64_f32_e32 v[20:21], v71
	v_cvt_f64_f32_e32 v[22:23], v25
	v_cvt_f64_f32_e32 v[24:25], v72
	v_cvt_f64_f32_e32 v[26:27], v26
	v_cvt_f64_f32_e32 v[28:29], v73
	v_cvt_f64_f32_e32 v[30:31], v30
	v_cvt_f64_f32_e32 v[32:33], v74
	v_cvt_f64_f32_e32 v[34:35], v34
	v_cvt_f64_f32_e32 v[36:37], v75
	v_cvt_f64_f32_e32 v[43:44], v38
	v_cvt_f64_f32_e32 v[45:46], v76
	v_cvt_f64_f32_e32 v[47:48], v47
	v_mul_f64 v[0:1], v[0:1], s[0:1]
	v_mul_f64 v[2:3], v[2:3], s[0:1]
	;; [unrolled: 1-line block ×22, first 2 shown]
	v_cvt_f32_f64_e32 v0, v[0:1]
	v_cvt_f32_f64_e32 v1, v[2:3]
	;; [unrolled: 1-line block ×22, first 2 shown]
	v_add_co_u32 v22, vcc_lo, v67, v51
	v_add_co_ci_u32_e32 v23, vcc_lo, v68, v52, vcc_lo
	v_add_co_u32 v24, vcc_lo, v67, v57
	v_add_co_ci_u32_e32 v25, vcc_lo, v68, v58, vcc_lo
	;; [unrolled: 2-line block ×3, first 2 shown]
	global_store_dwordx2 v[53:54], v[0:1], off
	global_store_dwordx2 v[55:56], v[2:3], off
	;; [unrolled: 1-line block ×11, first 2 shown]
.LBB0_15:
	s_endpgm
	.section	.rodata,"a",@progbits
	.p2align	6, 0x0
	.amdhsa_kernel bluestein_single_fwd_len132_dim1_sp_op_CI_CI
		.amdhsa_group_segment_fixed_size 5280
		.amdhsa_private_segment_fixed_size 0
		.amdhsa_kernarg_size 104
		.amdhsa_user_sgpr_count 6
		.amdhsa_user_sgpr_private_segment_buffer 1
		.amdhsa_user_sgpr_dispatch_ptr 0
		.amdhsa_user_sgpr_queue_ptr 0
		.amdhsa_user_sgpr_kernarg_segment_ptr 1
		.amdhsa_user_sgpr_dispatch_id 0
		.amdhsa_user_sgpr_flat_scratch_init 0
		.amdhsa_user_sgpr_private_segment_size 0
		.amdhsa_wavefront_size32 1
		.amdhsa_uses_dynamic_stack 0
		.amdhsa_system_sgpr_private_segment_wavefront_offset 0
		.amdhsa_system_sgpr_workgroup_id_x 1
		.amdhsa_system_sgpr_workgroup_id_y 0
		.amdhsa_system_sgpr_workgroup_id_z 0
		.amdhsa_system_sgpr_workgroup_info 0
		.amdhsa_system_vgpr_workitem_id 0
		.amdhsa_next_free_vgpr 121
		.amdhsa_next_free_sgpr 16
		.amdhsa_reserve_vcc 1
		.amdhsa_reserve_flat_scratch 0
		.amdhsa_float_round_mode_32 0
		.amdhsa_float_round_mode_16_64 0
		.amdhsa_float_denorm_mode_32 3
		.amdhsa_float_denorm_mode_16_64 3
		.amdhsa_dx10_clamp 1
		.amdhsa_ieee_mode 1
		.amdhsa_fp16_overflow 0
		.amdhsa_workgroup_processor_mode 1
		.amdhsa_memory_ordered 1
		.amdhsa_forward_progress 0
		.amdhsa_shared_vgpr_count 0
		.amdhsa_exception_fp_ieee_invalid_op 0
		.amdhsa_exception_fp_denorm_src 0
		.amdhsa_exception_fp_ieee_div_zero 0
		.amdhsa_exception_fp_ieee_overflow 0
		.amdhsa_exception_fp_ieee_underflow 0
		.amdhsa_exception_fp_ieee_inexact 0
		.amdhsa_exception_int_div_zero 0
	.end_amdhsa_kernel
	.text
.Lfunc_end0:
	.size	bluestein_single_fwd_len132_dim1_sp_op_CI_CI, .Lfunc_end0-bluestein_single_fwd_len132_dim1_sp_op_CI_CI
                                        ; -- End function
	.section	.AMDGPU.csdata,"",@progbits
; Kernel info:
; codeLenInByte = 8508
; NumSgprs: 18
; NumVgprs: 121
; ScratchSize: 0
; MemoryBound: 0
; FloatMode: 240
; IeeeMode: 1
; LDSByteSize: 5280 bytes/workgroup (compile time only)
; SGPRBlocks: 2
; VGPRBlocks: 15
; NumSGPRsForWavesPerEU: 18
; NumVGPRsForWavesPerEU: 121
; Occupancy: 8
; WaveLimiterHint : 1
; COMPUTE_PGM_RSRC2:SCRATCH_EN: 0
; COMPUTE_PGM_RSRC2:USER_SGPR: 6
; COMPUTE_PGM_RSRC2:TRAP_HANDLER: 0
; COMPUTE_PGM_RSRC2:TGID_X_EN: 1
; COMPUTE_PGM_RSRC2:TGID_Y_EN: 0
; COMPUTE_PGM_RSRC2:TGID_Z_EN: 0
; COMPUTE_PGM_RSRC2:TIDIG_COMP_CNT: 0
	.text
	.p2alignl 6, 3214868480
	.fill 48, 4, 3214868480
	.type	__hip_cuid_a0bb1e4d06e75bb2,@object ; @__hip_cuid_a0bb1e4d06e75bb2
	.section	.bss,"aw",@nobits
	.globl	__hip_cuid_a0bb1e4d06e75bb2
__hip_cuid_a0bb1e4d06e75bb2:
	.byte	0                               ; 0x0
	.size	__hip_cuid_a0bb1e4d06e75bb2, 1

	.ident	"AMD clang version 19.0.0git (https://github.com/RadeonOpenCompute/llvm-project roc-6.4.0 25133 c7fe45cf4b819c5991fe208aaa96edf142730f1d)"
	.section	".note.GNU-stack","",@progbits
	.addrsig
	.addrsig_sym __hip_cuid_a0bb1e4d06e75bb2
	.amdgpu_metadata
---
amdhsa.kernels:
  - .args:
      - .actual_access:  read_only
        .address_space:  global
        .offset:         0
        .size:           8
        .value_kind:     global_buffer
      - .actual_access:  read_only
        .address_space:  global
        .offset:         8
        .size:           8
        .value_kind:     global_buffer
      - .actual_access:  read_only
        .address_space:  global
        .offset:         16
        .size:           8
        .value_kind:     global_buffer
      - .actual_access:  read_only
        .address_space:  global
        .offset:         24
        .size:           8
        .value_kind:     global_buffer
      - .actual_access:  read_only
        .address_space:  global
        .offset:         32
        .size:           8
        .value_kind:     global_buffer
      - .offset:         40
        .size:           8
        .value_kind:     by_value
      - .address_space:  global
        .offset:         48
        .size:           8
        .value_kind:     global_buffer
      - .address_space:  global
        .offset:         56
        .size:           8
        .value_kind:     global_buffer
      - .address_space:  global
        .offset:         64
        .size:           8
        .value_kind:     global_buffer
      - .address_space:  global
        .offset:         72
        .size:           8
        .value_kind:     global_buffer
      - .offset:         80
        .size:           4
        .value_kind:     by_value
      - .address_space:  global
        .offset:         88
        .size:           8
        .value_kind:     global_buffer
      - .address_space:  global
        .offset:         96
        .size:           8
        .value_kind:     global_buffer
    .group_segment_fixed_size: 5280
    .kernarg_segment_align: 8
    .kernarg_segment_size: 104
    .language:       OpenCL C
    .language_version:
      - 2
      - 0
    .max_flat_workgroup_size: 110
    .name:           bluestein_single_fwd_len132_dim1_sp_op_CI_CI
    .private_segment_fixed_size: 0
    .sgpr_count:     18
    .sgpr_spill_count: 0
    .symbol:         bluestein_single_fwd_len132_dim1_sp_op_CI_CI.kd
    .uniform_work_group_size: 1
    .uses_dynamic_stack: false
    .vgpr_count:     121
    .vgpr_spill_count: 0
    .wavefront_size: 32
    .workgroup_processor_mode: 1
amdhsa.target:   amdgcn-amd-amdhsa--gfx1030
amdhsa.version:
  - 1
  - 2
...

	.end_amdgpu_metadata
